;; amdgpu-corpus repo=ROCm/rocFFT kind=compiled arch=gfx906 opt=O3
	.text
	.amdgcn_target "amdgcn-amd-amdhsa--gfx906"
	.amdhsa_code_object_version 6
	.protected	fft_rtc_back_len714_factors_3_17_7_2_wgs_51_tpt_51_halfLds_half_ip_CI_unitstride_sbrr_C2R_dirReg ; -- Begin function fft_rtc_back_len714_factors_3_17_7_2_wgs_51_tpt_51_halfLds_half_ip_CI_unitstride_sbrr_C2R_dirReg
	.globl	fft_rtc_back_len714_factors_3_17_7_2_wgs_51_tpt_51_halfLds_half_ip_CI_unitstride_sbrr_C2R_dirReg
	.p2align	8
	.type	fft_rtc_back_len714_factors_3_17_7_2_wgs_51_tpt_51_halfLds_half_ip_CI_unitstride_sbrr_C2R_dirReg,@function
fft_rtc_back_len714_factors_3_17_7_2_wgs_51_tpt_51_halfLds_half_ip_CI_unitstride_sbrr_C2R_dirReg: ; @fft_rtc_back_len714_factors_3_17_7_2_wgs_51_tpt_51_halfLds_half_ip_CI_unitstride_sbrr_C2R_dirReg
; %bb.0:
	s_load_dwordx2 s[2:3], s[4:5], 0x50
	s_load_dwordx4 s[8:11], s[4:5], 0x0
	s_load_dwordx2 s[12:13], s[4:5], 0x18
	v_mul_u32_u24_e32 v1, 0x506, v0
	v_add_u32_sdwa v5, s6, v1 dst_sel:DWORD dst_unused:UNUSED_PAD src0_sel:DWORD src1_sel:WORD_1
	v_mov_b32_e32 v3, 0
	s_waitcnt lgkmcnt(0)
	v_cmp_lt_u64_e64 s[0:1], s[10:11], 2
	v_mov_b32_e32 v1, 0
	v_mov_b32_e32 v6, v3
	s_and_b64 vcc, exec, s[0:1]
	v_mov_b32_e32 v2, 0
	s_cbranch_vccnz .LBB0_8
; %bb.1:
	s_load_dwordx2 s[0:1], s[4:5], 0x10
	s_add_u32 s6, s12, 8
	s_addc_u32 s7, s13, 0
	v_mov_b32_e32 v1, 0
	v_mov_b32_e32 v2, 0
	s_waitcnt lgkmcnt(0)
	s_add_u32 s14, s0, 8
	s_addc_u32 s15, s1, 0
	s_mov_b64 s[16:17], 1
.LBB0_2:                                ; =>This Inner Loop Header: Depth=1
	s_load_dwordx2 s[18:19], s[14:15], 0x0
                                        ; implicit-def: $vgpr7_vgpr8
	s_waitcnt lgkmcnt(0)
	v_or_b32_e32 v4, s19, v6
	v_cmp_ne_u64_e32 vcc, 0, v[3:4]
	s_and_saveexec_b64 s[0:1], vcc
	s_xor_b64 s[20:21], exec, s[0:1]
	s_cbranch_execz .LBB0_4
; %bb.3:                                ;   in Loop: Header=BB0_2 Depth=1
	v_cvt_f32_u32_e32 v4, s18
	v_cvt_f32_u32_e32 v7, s19
	s_sub_u32 s0, 0, s18
	s_subb_u32 s1, 0, s19
	v_mac_f32_e32 v4, 0x4f800000, v7
	v_rcp_f32_e32 v4, v4
	v_mul_f32_e32 v4, 0x5f7ffffc, v4
	v_mul_f32_e32 v7, 0x2f800000, v4
	v_trunc_f32_e32 v7, v7
	v_mac_f32_e32 v4, 0xcf800000, v7
	v_cvt_u32_f32_e32 v7, v7
	v_cvt_u32_f32_e32 v4, v4
	v_mul_lo_u32 v8, s0, v7
	v_mul_hi_u32 v9, s0, v4
	v_mul_lo_u32 v11, s1, v4
	v_mul_lo_u32 v10, s0, v4
	v_add_u32_e32 v8, v9, v8
	v_add_u32_e32 v8, v8, v11
	v_mul_hi_u32 v9, v4, v10
	v_mul_lo_u32 v11, v4, v8
	v_mul_hi_u32 v13, v4, v8
	v_mul_hi_u32 v12, v7, v10
	v_mul_lo_u32 v10, v7, v10
	v_mul_hi_u32 v14, v7, v8
	v_add_co_u32_e32 v9, vcc, v9, v11
	v_addc_co_u32_e32 v11, vcc, 0, v13, vcc
	v_mul_lo_u32 v8, v7, v8
	v_add_co_u32_e32 v9, vcc, v9, v10
	v_addc_co_u32_e32 v9, vcc, v11, v12, vcc
	v_addc_co_u32_e32 v10, vcc, 0, v14, vcc
	v_add_co_u32_e32 v8, vcc, v9, v8
	v_addc_co_u32_e32 v9, vcc, 0, v10, vcc
	v_add_co_u32_e32 v4, vcc, v4, v8
	v_addc_co_u32_e32 v7, vcc, v7, v9, vcc
	v_mul_lo_u32 v8, s0, v7
	v_mul_hi_u32 v9, s0, v4
	v_mul_lo_u32 v10, s1, v4
	v_mul_lo_u32 v11, s0, v4
	v_add_u32_e32 v8, v9, v8
	v_add_u32_e32 v8, v8, v10
	v_mul_lo_u32 v12, v4, v8
	v_mul_hi_u32 v13, v4, v11
	v_mul_hi_u32 v14, v4, v8
	;; [unrolled: 1-line block ×3, first 2 shown]
	v_mul_lo_u32 v11, v7, v11
	v_mul_hi_u32 v9, v7, v8
	v_add_co_u32_e32 v12, vcc, v13, v12
	v_addc_co_u32_e32 v13, vcc, 0, v14, vcc
	v_mul_lo_u32 v8, v7, v8
	v_add_co_u32_e32 v11, vcc, v12, v11
	v_addc_co_u32_e32 v10, vcc, v13, v10, vcc
	v_addc_co_u32_e32 v9, vcc, 0, v9, vcc
	v_add_co_u32_e32 v8, vcc, v10, v8
	v_addc_co_u32_e32 v9, vcc, 0, v9, vcc
	v_add_co_u32_e32 v4, vcc, v4, v8
	v_addc_co_u32_e32 v9, vcc, v7, v9, vcc
	v_mad_u64_u32 v[7:8], s[0:1], v5, v9, 0
	v_mul_hi_u32 v10, v5, v4
	v_add_co_u32_e32 v11, vcc, v10, v7
	v_addc_co_u32_e32 v12, vcc, 0, v8, vcc
	v_mad_u64_u32 v[7:8], s[0:1], v6, v4, 0
	v_mad_u64_u32 v[9:10], s[0:1], v6, v9, 0
	v_add_co_u32_e32 v4, vcc, v11, v7
	v_addc_co_u32_e32 v4, vcc, v12, v8, vcc
	v_addc_co_u32_e32 v7, vcc, 0, v10, vcc
	v_add_co_u32_e32 v4, vcc, v4, v9
	v_addc_co_u32_e32 v9, vcc, 0, v7, vcc
	v_mul_lo_u32 v10, s19, v4
	v_mul_lo_u32 v11, s18, v9
	v_mad_u64_u32 v[7:8], s[0:1], s18, v4, 0
	v_add3_u32 v8, v8, v11, v10
	v_sub_u32_e32 v10, v6, v8
	v_mov_b32_e32 v11, s19
	v_sub_co_u32_e32 v7, vcc, v5, v7
	v_subb_co_u32_e64 v10, s[0:1], v10, v11, vcc
	v_subrev_co_u32_e64 v11, s[0:1], s18, v7
	v_subbrev_co_u32_e64 v10, s[0:1], 0, v10, s[0:1]
	v_cmp_le_u32_e64 s[0:1], s19, v10
	v_cndmask_b32_e64 v12, 0, -1, s[0:1]
	v_cmp_le_u32_e64 s[0:1], s18, v11
	v_cndmask_b32_e64 v11, 0, -1, s[0:1]
	v_cmp_eq_u32_e64 s[0:1], s19, v10
	v_cndmask_b32_e64 v10, v12, v11, s[0:1]
	v_add_co_u32_e64 v11, s[0:1], 2, v4
	v_addc_co_u32_e64 v12, s[0:1], 0, v9, s[0:1]
	v_add_co_u32_e64 v13, s[0:1], 1, v4
	v_addc_co_u32_e64 v14, s[0:1], 0, v9, s[0:1]
	v_subb_co_u32_e32 v8, vcc, v6, v8, vcc
	v_cmp_ne_u32_e64 s[0:1], 0, v10
	v_cmp_le_u32_e32 vcc, s19, v8
	v_cndmask_b32_e64 v10, v14, v12, s[0:1]
	v_cndmask_b32_e64 v12, 0, -1, vcc
	v_cmp_le_u32_e32 vcc, s18, v7
	v_cndmask_b32_e64 v7, 0, -1, vcc
	v_cmp_eq_u32_e32 vcc, s19, v8
	v_cndmask_b32_e32 v7, v12, v7, vcc
	v_cmp_ne_u32_e32 vcc, 0, v7
	v_cndmask_b32_e64 v7, v13, v11, s[0:1]
	v_cndmask_b32_e32 v8, v9, v10, vcc
	v_cndmask_b32_e32 v7, v4, v7, vcc
.LBB0_4:                                ;   in Loop: Header=BB0_2 Depth=1
	s_andn2_saveexec_b64 s[0:1], s[20:21]
	s_cbranch_execz .LBB0_6
; %bb.5:                                ;   in Loop: Header=BB0_2 Depth=1
	v_cvt_f32_u32_e32 v4, s18
	s_sub_i32 s20, 0, s18
	v_rcp_iflag_f32_e32 v4, v4
	v_mul_f32_e32 v4, 0x4f7ffffe, v4
	v_cvt_u32_f32_e32 v4, v4
	v_mul_lo_u32 v7, s20, v4
	v_mul_hi_u32 v7, v4, v7
	v_add_u32_e32 v4, v4, v7
	v_mul_hi_u32 v4, v5, v4
	v_mul_lo_u32 v7, v4, s18
	v_add_u32_e32 v8, 1, v4
	v_sub_u32_e32 v7, v5, v7
	v_subrev_u32_e32 v9, s18, v7
	v_cmp_le_u32_e32 vcc, s18, v7
	v_cndmask_b32_e32 v7, v7, v9, vcc
	v_cndmask_b32_e32 v4, v4, v8, vcc
	v_add_u32_e32 v8, 1, v4
	v_cmp_le_u32_e32 vcc, s18, v7
	v_cndmask_b32_e32 v7, v4, v8, vcc
	v_mov_b32_e32 v8, v3
.LBB0_6:                                ;   in Loop: Header=BB0_2 Depth=1
	s_or_b64 exec, exec, s[0:1]
	v_mul_lo_u32 v4, v8, s18
	v_mul_lo_u32 v11, v7, s19
	v_mad_u64_u32 v[9:10], s[0:1], v7, s18, 0
	s_load_dwordx2 s[0:1], s[6:7], 0x0
	s_add_u32 s16, s16, 1
	v_add3_u32 v4, v10, v11, v4
	v_sub_co_u32_e32 v5, vcc, v5, v9
	v_subb_co_u32_e32 v4, vcc, v6, v4, vcc
	s_waitcnt lgkmcnt(0)
	v_mul_lo_u32 v4, s0, v4
	v_mul_lo_u32 v6, s1, v5
	v_mad_u64_u32 v[1:2], s[0:1], s0, v5, v[1:2]
	s_addc_u32 s17, s17, 0
	s_add_u32 s6, s6, 8
	v_add3_u32 v2, v6, v2, v4
	v_mov_b32_e32 v4, s10
	v_mov_b32_e32 v5, s11
	s_addc_u32 s7, s7, 0
	v_cmp_ge_u64_e32 vcc, s[16:17], v[4:5]
	s_add_u32 s14, s14, 8
	s_addc_u32 s15, s15, 0
	s_cbranch_vccnz .LBB0_9
; %bb.7:                                ;   in Loop: Header=BB0_2 Depth=1
	v_mov_b32_e32 v5, v7
	v_mov_b32_e32 v6, v8
	s_branch .LBB0_2
.LBB0_8:
	v_mov_b32_e32 v8, v6
	v_mov_b32_e32 v7, v5
.LBB0_9:
	s_lshl_b64 s[0:1], s[10:11], 3
	s_add_u32 s0, s12, s0
	s_addc_u32 s1, s13, s1
	s_load_dwordx2 s[6:7], s[0:1], 0x0
	s_load_dwordx2 s[10:11], s[4:5], 0x20
	s_waitcnt lgkmcnt(0)
	v_mad_u64_u32 v[1:2], s[0:1], s6, v7, v[1:2]
	s_mov_b32 s0, 0x5050506
	v_mul_lo_u32 v3, s6, v8
	v_mul_lo_u32 v4, s7, v7
	v_mul_hi_u32 v5, v0, s0
	v_cmp_gt_u64_e32 vcc, s[10:11], v[7:8]
	v_add3_u32 v2, v4, v2, v3
	v_mul_u32_u24_e32 v3, 51, v5
	v_sub_u32_e32 v4, v0, v3
	v_lshlrev_b64 v[2:3], 2, v[1:2]
	v_mov_b32_e32 v5, 0
	v_mov_b32_e32 v0, v4
	s_and_saveexec_b64 s[4:5], vcc
	s_cbranch_execz .LBB0_13
; %bb.10:
	v_mov_b32_e32 v1, s3
	v_add_co_u32_e64 v0, s[0:1], s2, v2
	v_lshlrev_b64 v[6:7], 2, v[4:5]
	v_addc_co_u32_e64 v1, s[0:1], v1, v3, s[0:1]
	v_add_co_u32_e64 v6, s[0:1], v0, v6
	v_addc_co_u32_e64 v7, s[0:1], v1, v7, s[0:1]
	global_load_dword v8, v[6:7], off
	global_load_dword v9, v[6:7], off offset:204
	global_load_dword v10, v[6:7], off offset:408
	;; [unrolled: 1-line block ×13, first 2 shown]
	v_lshl_add_u32 v6, v4, 2, 0
	v_add_u32_e32 v7, 0x400, v6
	v_add_u32_e32 v22, 0x600, v6
	v_add_u32_e32 v23, 0x800, v6
	v_cmp_eq_u32_e64 s[0:1], 50, v4
	s_waitcnt vmcnt(12)
	ds_write2_b32 v6, v8, v9 offset1:51
	s_waitcnt vmcnt(10)
	ds_write2_b32 v6, v10, v11 offset0:102 offset1:153
	s_waitcnt vmcnt(8)
	ds_write2_b32 v6, v12, v13 offset0:204 offset1:255
	;; [unrolled: 2-line block ×6, first 2 shown]
	v_mov_b32_e32 v6, v5
	v_mov_b32_e32 v5, v4
	s_and_saveexec_b64 s[6:7], s[0:1]
	s_cbranch_execz .LBB0_12
; %bb.11:
	global_load_dword v0, v[0:1], off offset:2856
	v_mov_b32_e32 v5, 50
	v_mov_b32_e32 v1, 0
	;; [unrolled: 1-line block ×4, first 2 shown]
	s_waitcnt vmcnt(0)
	ds_write_b32 v1, v0 offset:2856
.LBB0_12:
	s_or_b64 exec, exec, s[6:7]
	v_mov_b32_e32 v0, v4
	v_mov_b32_e32 v4, v5
	;; [unrolled: 1-line block ×3, first 2 shown]
.LBB0_13:
	s_or_b64 exec, exec, s[4:5]
	v_lshlrev_b32_e32 v1, 2, v0
	v_add_u32_e32 v24, 0, v1
	s_waitcnt lgkmcnt(0)
	; wave barrier
	s_waitcnt lgkmcnt(0)
	v_sub_u32_e32 v8, 0, v1
	ds_read_u16 v1, v24
	ds_read_u16 v6, v8 offset:2856
	v_lshlrev_b64 v[4:5], 2, v[4:5]
	v_cmp_ne_u32_e64 s[0:1], 0, v0
	s_waitcnt lgkmcnt(0)
	v_add_f16_e32 v9, v6, v1
	v_sub_f16_e32 v10, v1, v6
	s_and_saveexec_b64 s[4:5], s[0:1]
	s_xor_b64 s[4:5], exec, s[4:5]
	s_cbranch_execz .LBB0_15
; %bb.14:
	v_mov_b32_e32 v7, s9
	v_add_co_u32_e64 v9, s[0:1], s8, v4
	v_addc_co_u32_e64 v10, s[0:1], v7, v5, s[0:1]
	global_load_dword v7, v[9:10], off offset:2844
	ds_read_u16 v9, v8 offset:2858
	ds_read_u16 v10, v24 offset:2
	v_add_f16_e32 v11, v6, v1
	v_sub_f16_e32 v1, v1, v6
	s_waitcnt lgkmcnt(0)
	v_add_f16_e32 v6, v9, v10
	v_sub_f16_e32 v9, v10, v9
	s_waitcnt vmcnt(0)
	v_lshrrev_b32_e32 v10, 16, v7
	v_fma_f16 v12, v1, v10, v11
	v_fma_f16 v13, v6, v10, v9
	v_fma_f16 v11, -v1, v10, v11
	v_fma_f16 v14, v6, v10, -v9
	v_fma_f16 v9, -v7, v6, v12
	v_fma_f16 v10, v1, v7, v13
	v_fma_f16 v6, v7, v6, v11
	;; [unrolled: 1-line block ×3, first 2 shown]
	v_pack_b32_f16 v1, v6, v1
	ds_write_b32 v8, v1 offset:2856
.LBB0_15:
	s_andn2_saveexec_b64 s[0:1], s[4:5]
	s_cbranch_execz .LBB0_17
; %bb.16:
	v_mov_b32_e32 v1, 0
	ds_read_b32 v6, v1 offset:1428
	s_mov_b32 s4, 0xc0004000
	s_waitcnt lgkmcnt(0)
	v_pk_mul_f16 v6, v6, s4
	ds_write_b32 v1, v6 offset:1428
.LBB0_17:
	s_or_b64 exec, exec, s[0:1]
	v_mov_b32_e32 v1, 0
	s_add_u32 s0, s8, 0xb1c
	v_lshlrev_b64 v[6:7], 2, v[0:1]
	s_addc_u32 s1, s9, 0
	v_mov_b32_e32 v1, s1
	v_add_co_u32_e64 v11, s[0:1], s0, v6
	v_addc_co_u32_e64 v12, s[0:1], v1, v7, s[0:1]
	global_load_dword v1, v[11:12], off offset:204
	global_load_dword v13, v[11:12], off offset:408
	;; [unrolled: 1-line block ×4, first 2 shown]
	s_mov_b32 s6, 0x5040100
	v_perm_b32 v9, v10, v9, s6
	ds_write_b32 v24, v9
	ds_read_b32 v9, v24 offset:204
	ds_read_b32 v10, v8 offset:2652
	global_load_dword v16, v[11:12], off offset:1020
	global_load_dword v17, v[11:12], off offset:1224
	s_movk_i32 s0, 0x3aee
	s_mov_b32 s1, 0xffff
	s_waitcnt lgkmcnt(0)
	v_add_f16_e32 v11, v9, v10
	v_add_f16_sdwa v12, v10, v9 dst_sel:DWORD dst_unused:UNUSED_PAD src0_sel:WORD_1 src1_sel:WORD_1
	v_sub_f16_e32 v18, v9, v10
	v_sub_f16_sdwa v9, v9, v10 dst_sel:DWORD dst_unused:UNUSED_PAD src0_sel:WORD_1 src1_sel:WORD_1
	s_waitcnt vmcnt(5)
	v_lshrrev_b32_e32 v10, 16, v1
	v_fma_f16 v19, v18, v10, v11
	v_fma_f16 v20, v12, v10, v9
	v_fma_f16 v11, -v18, v10, v11
	v_fma_f16 v9, v12, v10, -v9
	v_fma_f16 v10, -v1, v12, v19
	v_fma_f16 v19, v18, v1, v20
	v_fma_f16 v11, v1, v12, v11
	v_fma_f16 v1, v18, v1, v9
	v_pack_b32_f16 v9, v10, v19
	v_pack_b32_f16 v1, v11, v1
	ds_write_b32 v24, v9 offset:204
	ds_write_b32 v8, v1 offset:2652
	ds_read_b32 v1, v24 offset:408
	ds_read_b32 v9, v8 offset:2448
	s_waitcnt vmcnt(4)
	v_lshrrev_b32_e32 v10, 16, v13
	s_waitcnt lgkmcnt(0)
	v_add_f16_e32 v11, v1, v9
	v_add_f16_sdwa v12, v9, v1 dst_sel:DWORD dst_unused:UNUSED_PAD src0_sel:WORD_1 src1_sel:WORD_1
	v_sub_f16_e32 v18, v1, v9
	v_sub_f16_sdwa v1, v1, v9 dst_sel:DWORD dst_unused:UNUSED_PAD src0_sel:WORD_1 src1_sel:WORD_1
	v_fma_f16 v9, v18, v10, v11
	v_fma_f16 v19, v12, v10, v1
	v_fma_f16 v11, -v18, v10, v11
	v_fma_f16 v1, v12, v10, -v1
	v_fma_f16 v9, -v13, v12, v9
	v_fma_f16 v10, v18, v13, v19
	v_fma_f16 v11, v13, v12, v11
	v_fma_f16 v1, v18, v13, v1
	v_pack_b32_f16 v9, v9, v10
	v_pack_b32_f16 v1, v11, v1
	ds_write_b32 v24, v9 offset:408
	ds_write_b32 v8, v1 offset:2448
	ds_read_b32 v1, v24 offset:612
	ds_read_b32 v9, v8 offset:2244
	s_waitcnt vmcnt(3)
	v_lshrrev_b32_e32 v10, 16, v14
	s_waitcnt lgkmcnt(0)
	v_add_f16_e32 v11, v1, v9
	v_add_f16_sdwa v12, v9, v1 dst_sel:DWORD dst_unused:UNUSED_PAD src0_sel:WORD_1 src1_sel:WORD_1
	v_sub_f16_e32 v13, v1, v9
	v_sub_f16_sdwa v1, v1, v9 dst_sel:DWORD dst_unused:UNUSED_PAD src0_sel:WORD_1 src1_sel:WORD_1
	;; [unrolled: 21-line block ×4, first 2 shown]
	v_fma_f16 v9, v13, v10, v11
	v_fma_f16 v14, v12, v10, v1
	v_fma_f16 v11, -v13, v10, v11
	v_fma_f16 v1, v12, v10, -v1
	v_fma_f16 v9, -v16, v12, v9
	v_fma_f16 v10, v13, v16, v14
	v_fma_f16 v11, v16, v12, v11
	;; [unrolled: 1-line block ×3, first 2 shown]
	v_pack_b32_f16 v9, v9, v10
	v_pack_b32_f16 v1, v11, v1
	ds_write_b32 v24, v9 offset:1020
	ds_write_b32 v8, v1 offset:1836
	ds_read_b32 v1, v24 offset:1224
	ds_read_b32 v9, v8 offset:1632
	s_waitcnt vmcnt(0)
	v_lshrrev_b32_e32 v12, 16, v17
	v_add_u32_e32 v10, 0x400, v24
	v_add_u32_e32 v11, 0x800, v24
	s_waitcnt lgkmcnt(0)
	v_add_f16_e32 v13, v1, v9
	v_add_f16_sdwa v14, v9, v1 dst_sel:DWORD dst_unused:UNUSED_PAD src0_sel:WORD_1 src1_sel:WORD_1
	v_sub_f16_e32 v15, v1, v9
	v_sub_f16_sdwa v1, v1, v9 dst_sel:DWORD dst_unused:UNUSED_PAD src0_sel:WORD_1 src1_sel:WORD_1
	v_fma_f16 v9, v15, v12, v13
	v_fma_f16 v16, v14, v12, v1
	v_fma_f16 v13, -v15, v12, v13
	v_fma_f16 v1, v14, v12, -v1
	v_fma_f16 v9, -v17, v14, v9
	v_fma_f16 v12, v15, v17, v16
	v_fma_f16 v13, v17, v14, v13
	;; [unrolled: 1-line block ×3, first 2 shown]
	v_pack_b32_f16 v9, v9, v12
	v_pack_b32_f16 v1, v13, v1
	ds_write_b32 v24, v9 offset:1224
	ds_write_b32 v8, v1 offset:1632
	s_waitcnt lgkmcnt(0)
	; wave barrier
	s_waitcnt lgkmcnt(0)
	s_waitcnt lgkmcnt(0)
	; wave barrier
	s_waitcnt lgkmcnt(0)
	ds_read2_b32 v[17:18], v10 offset0:135 offset1:186
	ds_read2_b32 v[14:15], v11 offset0:66 offset1:117
	;; [unrolled: 1-line block ×3, first 2 shown]
	ds_read2_b32 v[8:9], v24 offset1:51
	v_add_u32_e32 v1, 0x600, v24
	ds_read2_b32 v[11:12], v1 offset0:92 offset1:143
	s_waitcnt lgkmcnt(3)
	v_pk_add_f16 v1, v17, v15
	ds_read_b32 v23, v24 offset:2720
	ds_read2_b32 v[21:22], v10 offset0:33 offset1:84
	ds_read2_b32 v[25:26], v24 offset0:204 offset1:238
	s_waitcnt lgkmcnt(5)
	v_pk_fma_f16 v1, v1, 0.5, v20 op_sel_hi:[1,0,1] neg_lo:[1,0,0] neg_hi:[1,0,0]
	v_pk_add_f16 v13, v17, v15 neg_lo:[0,1] neg_hi:[0,1]
	v_pk_fma_f16 v30, v13, s0, v1 op_sel:[0,0,1] op_sel_hi:[1,0,0] neg_lo:[1,0,0] neg_hi:[1,0,0]
	v_pk_fma_f16 v35, v13, s0, v1 op_sel:[0,0,1] op_sel_hi:[1,0,0]
	v_lshlrev_b32_e32 v1, 3, v0
	v_add_u32_e32 v1, v24, v1
	v_add_u32_e32 v10, 0x730, v1
	v_alignbit_b32 v13, v30, v35, 16
	v_alignbit_b32 v16, v35, v30, 16
	s_waitcnt lgkmcnt(0)
	; wave barrier
	s_waitcnt lgkmcnt(0)
	ds_write2_b32 v10, v16, v13 offset1:1
	v_pk_add_f16 v10, v26, v11
	v_pk_add_f16 v13, v21, v12
	v_pk_fma_f16 v10, v10, 0.5, v8 op_sel_hi:[1,0,1] neg_lo:[1,0,0] neg_hi:[1,0,0]
	v_pk_fma_f16 v16, v13, 0.5, v9 op_sel_hi:[1,0,1] neg_lo:[1,0,0] neg_hi:[1,0,0]
	v_pk_add_f16 v8, v8, v26
	v_pk_add_f16 v13, v9, v21
	v_pk_add_f16 v9, v26, v11 neg_lo:[0,1] neg_hi:[0,1]
	v_pk_add_f16 v8, v8, v11
	v_pk_add_f16 v11, v13, v12
	v_pk_add_f16 v12, v21, v12 neg_lo:[0,1] neg_hi:[0,1]
	v_pk_mul_f16 v26, v9, s0 op_sel_hi:[1,0]
	v_pk_mul_f16 v12, v12, s0 op_sel_hi:[1,0]
	v_pk_add_f16 v9, v10, v26 op_sel:[0,1] op_sel_hi:[1,0] neg_lo:[0,1] neg_hi:[0,1]
	v_pk_add_f16 v10, v10, v26 op_sel:[0,1] op_sel_hi:[1,0]
	v_pk_add_f16 v13, v16, v12 op_sel:[0,1] op_sel_hi:[1,0]
	v_pk_add_f16 v12, v16, v12 op_sel:[0,1] op_sel_hi:[1,0] neg_lo:[0,1] neg_hi:[0,1]
	v_bfi_b32 v16, s1, v10, v9
	v_bfi_b32 v21, s1, v13, v12
	ds_write2_b32 v1, v16, v21 offset0:2 offset1:155
	v_pk_add_f16 v16, v22, v14
	v_pk_fma_f16 v21, v16, 0.5, v19 op_sel_hi:[1,0,1] neg_lo:[1,0,0] neg_hi:[1,0,0]
	v_pk_add_f16 v16, v20, v17
	v_pk_add_f16 v20, v22, v14 neg_lo:[0,1] neg_hi:[0,1]
	v_pk_add_f16 v17, v16, v15
	v_pk_mul_f16 v15, v20, s0 op_sel_hi:[1,0]
	v_pk_add_f16 v19, v19, v22
	v_pk_add_f16 v16, v21, v15 op_sel:[0,1] op_sel_hi:[1,0]
	v_pk_add_f16 v15, v21, v15 op_sel:[0,1] op_sel_hi:[1,0] neg_lo:[0,1] neg_hi:[0,1]
	v_pk_add_f16 v14, v19, v14
	v_add_u32_e32 v19, 0x4c8, v1
	v_bfi_b32 v20, s1, v15, v16
	ds_write2_b32 v19, v14, v20 offset1:1
	v_bfi_b32 v19, s1, v16, v15
	v_add_u32_e32 v20, 0x400, v1
	ds_write2_b32 v20, v19, v17 offset0:52 offset1:203
	v_pk_add_f16 v19, v18, v23
	v_pk_fma_f16 v19, v19, 0.5, v25 op_sel_hi:[1,0,1] neg_lo:[1,0,0] neg_hi:[1,0,0]
	v_pk_add_f16 v20, v25, v18
	v_pk_add_f16 v18, v18, v23 neg_lo:[0,1] neg_hi:[0,1]
	v_pk_fma_f16 v25, v18, s0, v19 op_sel:[0,0,1] op_sel_hi:[1,0,0] neg_lo:[1,0,0] neg_hi:[1,0,0]
	v_pk_fma_f16 v26, v18, s0, v19 op_sel:[0,0,1] op_sel_hi:[1,0,0]
	v_bfi_b32 v18, s1, v9, v10
	ds_write2_b32 v1, v8, v18 offset1:1
	v_bfi_b32 v18, s1, v12, v13
	v_pk_add_f16 v20, v20, v23
	v_lshrrev_b32_e32 v21, 16, v25
	v_cmp_gt_u32_e64 s[0:1], 34, v0
	ds_write2_b32 v1, v11, v18 offset0:153 offset1:154
	s_and_saveexec_b64 s[4:5], s[0:1]
	s_cbranch_execz .LBB0_19
; %bb.18:
	ds_write_b32 v1, v20 offset:2448
	v_add_u32_e32 v1, 0x994, v1
	v_perm_b32 v18, v26, v21, s6
	v_alignbit_b32 v19, v25, v26, 16
	ds_write2_b32 v1, v18, v19 offset1:1
.LBB0_19:
	s_or_b64 exec, exec, s[4:5]
	v_lshrrev_b32_e32 v18, 16, v30
	v_lshrrev_b32_e32 v42, 16, v9
	;; [unrolled: 1-line block ×4, first 2 shown]
	v_cmp_gt_u32_e64 s[0:1], 42, v0
	v_lshrrev_b32_e32 v43, 16, v10
	v_lshrrev_b32_e32 v44, 16, v11
	;; [unrolled: 1-line block ×5, first 2 shown]
	s_waitcnt lgkmcnt(0)
	; wave barrier
	s_waitcnt lgkmcnt(0)
                                        ; implicit-def: $vgpr31
                                        ; implicit-def: $vgpr27
                                        ; implicit-def: $vgpr29
                                        ; implicit-def: $vgpr23
	s_and_saveexec_b64 s[4:5], s[0:1]
	s_cbranch_execz .LBB0_21
; %bb.20:
	v_add_u32_e32 v1, 0x200, v24
	ds_read2_b32 v[14:15], v1 offset0:124 offset1:166
	v_add_u32_e32 v1, 0x400, v24
	ds_read2_b32 v[8:9], v24 offset1:42
	ds_read2_b32 v[16:17], v1 offset0:80 offset1:122
	ds_read2_b32 v[10:11], v24 offset0:84 offset1:126
	;; [unrolled: 1-line block ×4, first 2 shown]
	v_add_u32_e32 v1, 0x800, v24
	ds_read2_b32 v[22:23], v1 offset0:76 offset1:118
	v_add_u32_e32 v1, 0x600, v24
	ds_read_b32 v27, v24 offset:2688
	ds_read2_b32 v[20:21], v1 offset0:120 offset1:162
	s_waitcnt lgkmcnt(8)
	v_lshrrev_b32_e32 v40, 16, v15
	s_waitcnt lgkmcnt(6)
	v_lshrrev_b32_e32 v39, 16, v16
	;; [unrolled: 2-line block ×4, first 2 shown]
	v_lshrrev_b32_e32 v29, 16, v23
	s_waitcnt lgkmcnt(1)
	v_lshrrev_b32_e32 v31, 16, v27
	v_lshrrev_b32_e32 v43, 16, v9
	;; [unrolled: 1-line block ×7, first 2 shown]
	v_alignbit_b32 v35, v19, v18, 16
	s_waitcnt lgkmcnt(0)
	v_alignbit_b32 v26, v22, v21, 16
.LBB0_21:
	s_or_b64 exec, exec, s[4:5]
	s_waitcnt lgkmcnt(0)
	; wave barrier
	s_waitcnt lgkmcnt(0)
	s_and_saveexec_b64 s[4:5], s[0:1]
	s_cbranch_execz .LBB0_23
; %bb.22:
	s_movk_i32 s0, 0xab
	v_mul_lo_u16_sdwa v1, v0, s0 dst_sel:DWORD dst_unused:UNUSED_PAD src0_sel:BYTE_0 src1_sel:DWORD
	v_lshrrev_b16_e32 v1, 9, v1
	v_mul_lo_u16_e32 v19, 3, v1
	v_sub_u16_e32 v19, v0, v19
	v_mov_b32_e32 v22, 6
	v_lshlrev_b32_sdwa v22, v22, v19 dst_sel:DWORD dst_unused:UNUSED_PAD src0_sel:DWORD src1_sel:BYTE_0
	global_load_dwordx4 v[47:50], v22, s[8:9] offset:48
	global_load_dwordx4 v[51:54], v22, s[8:9] offset:32
	global_load_dwordx4 v[55:58], v22, s[8:9] offset:16
	global_load_dwordx4 v[59:62], v22, s[8:9]
	v_lshrrev_b32_e32 v34, 16, v20
	v_lshrrev_b32_e32 v36, 16, v35
	;; [unrolled: 1-line block ×4, first 2 shown]
	s_movk_i32 s6, 0x2de8
	s_mov_b32 s0, 0xbbdd
	s_mov_b32 s7, 0xb461
	;; [unrolled: 1-line block ×4, first 2 shown]
	s_movk_i32 s12, 0x35c8
	s_mov_b32 s11, 0xbb29
	s_movk_i32 s13, 0x3964
	s_mov_b32 s14, 0xb5c8
	s_mov_b32 s15, 0xb964
	s_movk_i32 s16, 0x3b29
	s_movk_i32 s19, 0x3b76
	;; [unrolled: 1-line block ×5, first 2 shown]
	s_mov_b32 s20, 0xb1e1
	s_mov_b32 s21, 0xbbb2
	s_movk_i32 s23, 0x3bf7
	s_movk_i32 s24, 0x3836
	;; [unrolled: 1-line block ×3, first 2 shown]
	s_mov_b32 s26, 0xb836
	v_mul_u32_u24_e32 v1, 0xcc, v1
	s_waitcnt vmcnt(3)
	v_mul_f16_sdwa v38, v31, v50 dst_sel:DWORD dst_unused:UNUSED_PAD src0_sel:DWORD src1_sel:WORD_1
	v_mul_f16_sdwa v22, v29, v49 dst_sel:DWORD dst_unused:UNUSED_PAD src0_sel:DWORD src1_sel:WORD_1
	;; [unrolled: 1-line block ×3, first 2 shown]
	s_waitcnt vmcnt(0)
	v_mul_f16_sdwa v91, v43, v59 dst_sel:DWORD dst_unused:UNUSED_PAD src0_sel:DWORD src1_sel:WORD_1
	v_mul_f16_sdwa v80, v39, v58 dst_sel:DWORD dst_unused:UNUSED_PAD src0_sel:DWORD src1_sel:WORD_1
	;; [unrolled: 1-line block ×6, first 2 shown]
	v_fma_f16 v27, v27, v50, v38
	v_fma_f16 v9, v9, v59, v91
	v_mul_f16_sdwa v33, v23, v49 dst_sel:DWORD dst_unused:UNUSED_PAD src0_sel:DWORD src1_sel:WORD_1
	v_mul_f16_sdwa v64, v25, v48 dst_sel:DWORD dst_unused:UNUSED_PAD src0_sel:DWORD src1_sel:WORD_1
	v_mul_f16_sdwa v66, v21, v47 dst_sel:DWORD dst_unused:UNUSED_PAD src0_sel:DWORD src1_sel:WORD_1
	v_mul_f16_sdwa v67, v26, v47 dst_sel:DWORD dst_unused:UNUSED_PAD src0_sel:DWORD src1_sel:WORD_1
	v_mul_f16_sdwa v68, v34, v54 dst_sel:DWORD dst_unused:UNUSED_PAD src0_sel:DWORD src1_sel:WORD_1
	v_mul_f16_sdwa v69, v20, v54 dst_sel:DWORD dst_unused:UNUSED_PAD src0_sel:DWORD src1_sel:WORD_1
	v_mul_f16_sdwa v70, v35, v52 dst_sel:DWORD dst_unused:UNUSED_PAD src0_sel:DWORD src1_sel:WORD_1
	v_mul_f16_sdwa v71, v18, v52 dst_sel:DWORD dst_unused:UNUSED_PAD src0_sel:DWORD src1_sel:WORD_1
	v_mul_f16_sdwa v72, v30, v53 dst_sel:DWORD dst_unused:UNUSED_PAD src0_sel:DWORD src1_sel:WORD_1
	v_mul_f16_sdwa v73, v36, v53 dst_sel:DWORD dst_unused:UNUSED_PAD src0_sel:DWORD src1_sel:WORD_1
	v_mul_f16_sdwa v74, v17, v51 dst_sel:DWORD dst_unused:UNUSED_PAD src0_sel:DWORD src1_sel:WORD_1
	v_mul_f16_sdwa v75, v37, v51 dst_sel:DWORD dst_unused:UNUSED_PAD src0_sel:DWORD src1_sel:WORD_1
	v_mul_f16_sdwa v77, v40, v57 dst_sel:DWORD dst_unused:UNUSED_PAD src0_sel:DWORD src1_sel:WORD_1
	v_mul_f16_sdwa v79, v15, v57 dst_sel:DWORD dst_unused:UNUSED_PAD src0_sel:DWORD src1_sel:WORD_1
	v_mul_f16_sdwa v82, v13, v55 dst_sel:DWORD dst_unused:UNUSED_PAD src0_sel:DWORD src1_sel:WORD_1
	v_mul_f16_sdwa v85, v44, v61 dst_sel:DWORD dst_unused:UNUSED_PAD src0_sel:DWORD src1_sel:WORD_1
	v_mul_f16_sdwa v87, v11, v61 dst_sel:DWORD dst_unused:UNUSED_PAD src0_sel:DWORD src1_sel:WORD_1
	v_mul_f16_sdwa v88, v45, v62 dst_sel:DWORD dst_unused:UNUSED_PAD src0_sel:DWORD src1_sel:WORD_1
	v_mul_f16_sdwa v89, v12, v62 dst_sel:DWORD dst_unused:UNUSED_PAD src0_sel:DWORD src1_sel:WORD_1
	v_fma_f16 v28, v23, v49, v22
	v_fma_f16 v22, v31, v50, -v63
	v_fma_f16 v38, v16, v58, v80
	v_fma_f16 v16, v39, v58, -v81
	;; [unrolled: 2-line block ×3, first 2 shown]
	v_fma_f16 v42, v43, v59, -v90
	v_sub_f16_e32 v43, v9, v27
	v_mul_f16_sdwa v65, v32, v48 dst_sel:DWORD dst_unused:UNUSED_PAD src0_sel:DWORD src1_sel:WORD_1
	v_mul_f16_sdwa v76, v46, v56 dst_sel:DWORD dst_unused:UNUSED_PAD src0_sel:DWORD src1_sel:WORD_1
	;; [unrolled: 1-line block ×4, first 2 shown]
	v_fma_f16 v23, v29, v49, -v33
	v_fma_f16 v29, v32, v48, v64
	v_fma_f16 v26, v26, v47, -v66
	v_fma_f16 v31, v21, v47, v67
	v_fma_f16 v32, v20, v54, v68
	;; [unrolled: 1-line block ×3, first 2 shown]
	v_fma_f16 v18, v34, v54, -v69
	v_fma_f16 v34, v36, v53, v72
	v_fma_f16 v20, v30, v53, -v73
	v_fma_f16 v21, v35, v52, -v71
	;; [unrolled: 1-line block ×3, first 2 shown]
	v_fma_f16 v35, v17, v51, v75
	v_fma_f16 v37, v15, v57, v77
	v_fma_f16 v15, v40, v57, -v79
	v_fma_f16 v17, v41, v55, -v82
	v_fma_f16 v40, v11, v61, v85
	v_fma_f16 v41, v12, v62, v88
	v_fma_f16 v11, v44, v61, -v87
	v_fma_f16 v12, v45, v62, -v89
	v_add_f16_e32 v44, v42, v22
	v_mul_f16_e32 v45, 0xb1e1, v43
	v_mul_f16_e32 v47, 0xb836, v43
	;; [unrolled: 1-line block ×5, first 2 shown]
	v_fma_f16 v25, v25, v48, -v65
	v_fma_f16 v36, v14, v56, v76
	v_fma_f16 v14, v46, v56, -v78
	v_fma_f16 v13, v13, v55, v83
	v_fma_f16 v46, v44, s0, v45
	v_fma_f16 v45, v44, s0, -v45
	v_fma_f16 v48, v44, s1, v47
	v_fma_f16 v47, v44, s1, -v47
	;; [unrolled: 2-line block ×5, first 2 shown]
	v_mul_f16_e32 v55, 0x3722, v44
	v_mul_f16_e32 v56, 0x39e9, v44
	;; [unrolled: 1-line block ×3, first 2 shown]
	v_sub_f16_e32 v60, v42, v22
	v_fma_f16 v57, v43, s16, v55
	v_fma_f16 v55, v43, s11, v55
	;; [unrolled: 1-line block ×6, first 2 shown]
	v_add_f16_e32 v44, v9, v27
	v_mul_f16_e32 v63, 0xb836, v60
	v_mul_f16_e32 v61, 0xb1e1, v60
	v_fma_f16 v64, v44, s1, -v63
	v_mul_f16_e32 v65, 0xba62, v60
	v_mul_f16_e32 v67, 0xbbb2, v60
	;; [unrolled: 1-line block ×6, first 2 shown]
	v_fma_f16 v62, v44, s0, -v61
	v_fma_f16 v61, v44, s0, v61
	v_fma_f16 v63, v44, s1, v63
	v_fma_f16 v66, v44, s10, -v65
	v_fma_f16 v65, v44, s10, v65
	v_fma_f16 v68, v44, s7, -v67
	;; [unrolled: 2-line block ×3, first 2 shown]
	v_fma_f16 v69, v44, s6, v69
	v_fma_f16 v73, v44, s17, v71
	v_fma_f16 v71, v44, s17, -v71
	v_fma_f16 v74, v44, s18, v72
	v_fma_f16 v72, v44, s18, -v72
	v_fma_f16 v75, v44, s19, v60
	v_fma_f16 v44, v44, s19, -v60
	v_add_f16_e32 v79, v8, v64
	v_add_f16_sdwa v64, v8, v42 dst_sel:DWORD dst_unused:UNUSED_PAD src0_sel:WORD_1 src1_sel:DWORD
	v_add_f16_sdwa v42, v8, v43 dst_sel:DWORD dst_unused:UNUSED_PAD src0_sel:WORD_1 src1_sel:DWORD
	v_sub_f16_e32 v43, v39, v28
	v_add_f16_sdwa v84, v8, v47 dst_sel:DWORD dst_unused:UNUSED_PAD src0_sel:WORD_1 src1_sel:DWORD
	v_add_f16_e32 v87, v8, v65
	v_add_f16_sdwa v92, v8, v59 dst_sel:DWORD dst_unused:UNUSED_PAD src0_sel:WORD_1 src1_sel:DWORD
	v_add_f16_e32 v65, v8, v9
	v_add_f16_e32 v59, v8, v71
	;; [unrolled: 1-line block ×4, first 2 shown]
	v_mul_f16_e32 v71, 0xb1e1, v43
	v_add_f16_e32 v72, v10, v23
	v_sub_f16_e32 v44, v40, v29
	v_add_f16_sdwa v54, v8, v54 dst_sel:DWORD dst_unused:UNUSED_PAD src0_sel:WORD_1 src1_sel:DWORD
	v_add_f16_e32 v60, v8, v70
	v_add_f16_sdwa v70, v8, v52 dst_sel:DWORD dst_unused:UNUSED_PAD src0_sel:WORD_1 src1_sel:DWORD
	v_add_f16_e32 v68, v8, v68
	;; [unrolled: 2-line block ×3, first 2 shown]
	v_add_f16_sdwa v78, v8, v48 dst_sel:DWORD dst_unused:UNUSED_PAD src0_sel:WORD_1 src1_sel:DWORD
	v_add_f16_sdwa v80, v8, v46 dst_sel:DWORD dst_unused:UNUSED_PAD src0_sel:WORD_1 src1_sel:DWORD
	v_add_f16_e32 v81, v8, v62
	v_add_f16_sdwa v82, v8, v45 dst_sel:DWORD dst_unused:UNUSED_PAD src0_sel:WORD_1 src1_sel:DWORD
	v_add_f16_e32 v83, v8, v61
	v_add_f16_e32 v85, v8, v63
	v_add_f16_sdwa v86, v8, v49 dst_sel:DWORD dst_unused:UNUSED_PAD src0_sel:WORD_1 src1_sel:DWORD
	v_add_f16_sdwa v88, v8, v51 dst_sel:DWORD dst_unused:UNUSED_PAD src0_sel:WORD_1 src1_sel:DWORD
	v_add_f16_e32 v67, v8, v67
	v_add_f16_sdwa v89, v8, v53 dst_sel:DWORD dst_unused:UNUSED_PAD src0_sel:WORD_1 src1_sel:DWORD
	v_add_f16_e32 v69, v8, v69
	;; [unrolled: 2-line block ×4, first 2 shown]
	v_add_f16_e32 v75, v8, v75
	v_add_f16_sdwa v62, v8, v55 dst_sel:DWORD dst_unused:UNUSED_PAD src0_sel:WORD_1 src1_sel:DWORD
	v_add_f16_sdwa v53, v8, v56 dst_sel:DWORD dst_unused:UNUSED_PAD src0_sel:WORD_1 src1_sel:DWORD
	v_fma_f16 v8, v72, s0, v71
	v_mul_f16_e32 v93, 0x3bb2, v44
	v_add_f16_e32 v94, v11, v25
	v_add_f16_e32 v8, v8, v54
	v_fma_f16 v45, v94, s7, v93
	v_add_f16_e32 v8, v45, v8
	v_sub_f16_e32 v45, v41, v31
	v_mul_f16_e32 v95, 0x35c8, v45
	v_add_f16_e32 v96, v12, v26
	v_fma_f16 v46, v96, s19, v95
	v_add_f16_e32 v8, v46, v8
	v_sub_f16_e32 v46, v13, v32
	v_mul_f16_e32 v97, 0xbb29, v46
	;; [unrolled: 5-line block ×4, first 2 shown]
	v_add_f16_e32 v102, v15, v21
	v_sub_f16_e32 v51, v38, v35
	v_fma_f16 v50, v102, s10, v101
	v_mul_f16_e32 v103, 0x3964, v51
	v_add_f16_e32 v104, v16, v30
	v_sub_f16_e32 v105, v10, v23
	v_add_f16_e32 v8, v50, v8
	v_fma_f16 v50, v104, s18, v103
	v_add_f16_e32 v52, v39, v28
	v_mul_f16_e32 v106, 0xb1e1, v105
	v_sub_f16_e32 v107, v11, v25
	v_add_f16_e32 v8, v50, v8
	v_fma_f16 v50, v52, s0, -v106
	v_add_f16_e32 v54, v40, v29
	v_mul_f16_e32 v108, 0x3bb2, v107
	v_add_f16_e32 v50, v50, v60
	v_fma_f16 v55, v54, s7, -v108
	v_sub_f16_e32 v109, v12, v26
	v_add_f16_e32 v50, v55, v50
	v_add_f16_e32 v55, v41, v31
	v_mul_f16_e32 v110, 0x35c8, v109
	v_fma_f16 v56, v55, s19, -v110
	v_sub_f16_e32 v111, v17, v18
	v_add_f16_e32 v50, v56, v50
	v_add_f16_e32 v56, v13, v32
	v_mul_f16_e32 v112, 0xbb29, v111
	;; [unrolled: 5-line block ×5, first 2 shown]
	v_fma_f16 v61, v60, s18, -v118
	v_mul_f16_e32 v119, 0x3836, v43
	v_add_f16_e32 v50, v61, v50
	v_fma_f16 v61, v72, s1, v119
	v_add_f16_e32 v61, v61, v70
	v_mul_f16_e32 v70, 0x3964, v44
	v_fma_f16 v63, v94, s18, v70
	v_mul_f16_e32 v120, 0xbb29, v45
	v_add_f16_e32 v61, v63, v61
	v_fma_f16 v63, v96, s17, v120
	v_mul_f16_e32 v121, 0xb1e1, v46
	v_add_f16_e32 v61, v63, v61
	;; [unrolled: 3-line block ×6, first 2 shown]
	v_fma_f16 v63, v52, s1, -v125
	v_add_f16_e32 v63, v63, v68
	v_mul_f16_e32 v68, 0x3964, v107
	v_fma_f16 v66, v54, s18, -v68
	v_mul_f16_e32 v126, 0xbb29, v109
	v_add_f16_e32 v63, v66, v63
	v_fma_f16 v66, v55, s17, -v126
	v_mul_f16_e32 v127, 0xb1e1, v111
	v_add_f16_e32 v63, v66, v63
	;; [unrolled: 3-line block ×6, first 2 shown]
	v_fma_f16 v66, v72, s7, v131
	v_add_f16_e32 v66, v66, v76
	v_mul_f16_e32 v76, 0xb5c8, v44
	v_fma_f16 v132, v94, s19, v76
	v_add_f16_e32 v66, v132, v66
	v_mul_f16_e32 v132, 0xb836, v45
	;; [unrolled: 3-line block ×7, first 2 shown]
	v_fma_f16 v131, v72, s7, -v131
	v_fma_f16 v138, v52, s7, -v137
	v_add_f16_e32 v86, v131, v86
	v_fma_f16 v76, v94, s19, -v76
	v_add_f16_e32 v77, v138, v77
	v_mul_f16_e32 v138, 0xb5c8, v107
	v_add_f16_e32 v76, v76, v86
	v_fma_f16 v86, v96, s1, -v132
	v_fma_f16 v139, v54, s19, -v138
	v_add_f16_e32 v76, v86, v76
	v_fma_f16 v86, v98, s6, -v133
	v_add_f16_e32 v77, v139, v77
	v_mul_f16_e32 v139, 0xb836, v109
	v_add_f16_e32 v76, v86, v76
	;; [unrolled: 7-line block ×3, first 2 shown]
	v_fma_f16 v86, v104, s17, -v136
	v_fma_f16 v141, v56, s6, -v140
	v_add_f16_e32 v76, v86, v76
	v_fma_f16 v86, v52, s7, v137
	v_add_f16_e32 v77, v141, v77
	v_mul_f16_e32 v141, 0xb964, v113
	v_add_f16_e32 v86, v86, v87
	v_fma_f16 v87, v54, s19, v138
	v_fma_f16 v142, v57, s18, -v141
	v_add_f16_e32 v86, v87, v86
	v_fma_f16 v87, v55, s1, v139
	v_add_f16_e32 v77, v142, v77
	v_mul_f16_e32 v142, 0xb1e1, v115
	v_add_f16_e32 v86, v87, v86
	v_fma_f16 v87, v56, s6, v140
	;; [unrolled: 7-line block ×3, first 2 shown]
	v_add_f16_e32 v86, v87, v86
	v_fma_f16 v87, v60, s17, v143
	v_add_f16_e32 v86, v87, v86
	v_fma_f16 v87, v72, s1, -v119
	v_add_f16_e32 v87, v87, v88
	v_fma_f16 v70, v94, s18, -v70
	;; [unrolled: 2-line block ×7, first 2 shown]
	v_add_f16_e32 v70, v87, v70
	v_fma_f16 v87, v52, s1, v125
	v_add_f16_e32 v67, v87, v67
	v_fma_f16 v68, v54, s18, v68
	v_add_f16_e32 v67, v68, v67
	v_fma_f16 v68, v55, s17, v126
	v_add_f16_e32 v67, v68, v67
	v_fma_f16 v68, v56, s0, v127
	v_add_f16_e32 v67, v68, v67
	v_fma_f16 v68, v57, s6, v128
	v_add_f16_e32 v67, v68, v67
	v_fma_f16 v68, v58, s19, v129
	v_add_f16_e32 v67, v68, v67
	v_fma_f16 v68, v60, s10, v130
	v_add_f16_e32 v67, v68, v67
	v_fma_f16 v68, v72, s0, -v71
	v_add_f16_e32 v68, v68, v89
	v_fma_f16 v71, v94, s7, -v93
	;; [unrolled: 2-line block ×7, first 2 shown]
	v_add_f16_e32 v68, v71, v68
	v_fma_f16 v71, v52, s0, v106
	v_add_f16_e32 v69, v71, v69
	v_fma_f16 v71, v54, s7, v108
	;; [unrolled: 2-line block ×7, first 2 shown]
	v_add_f16_e32 v69, v71, v69
	v_mul_f16_e32 v71, 0xb8d2, v72
	v_fma_f16 v87, v43, s22, v71
	v_mul_f16_e32 v88, 0xbbdd, v94
	v_add_f16_e32 v87, v87, v90
	v_fma_f16 v89, v44, s20, v88
	v_add_f16_e32 v87, v89, v87
	v_mul_f16_e32 v89, 0xb461, v96
	v_fma_f16 v90, v45, s21, v89
	v_add_f16_e32 v87, v90, v87
	v_mul_f16_e32 v90, 0x39e9, v98
	;; [unrolled: 3-line block ×9, first 2 shown]
	v_fma_f16 v144, v60, s17, -v143
	v_fma_f16 v108, v56, s18, v106
	v_add_f16_e32 v77, v144, v77
	v_mul_f16_e32 v144, 0x3b29, v43
	v_add_f16_e32 v73, v108, v73
	v_mul_f16_e32 v108, 0xb5c8, v113
	v_fma_f16 v145, v72, s17, v144
	v_fma_f16 v110, v57, s19, v108
	v_add_f16_e32 v78, v145, v78
	v_mul_f16_e32 v145, 0xbbf7, v44
	v_add_f16_e32 v73, v110, v73
	v_mul_f16_e32 v110, 0xbbf7, v115
	v_fma_f16 v146, v94, s6, v145
	;; [unrolled: 6-line block ×7, first 2 shown]
	v_fma_f16 v120, v46, s26, v119
	v_add_f16_e32 v78, v151, v78
	v_mul_f16_e32 v151, 0x3b29, v105
	v_add_f16_e32 v91, v120, v91
	v_mul_f16_e32 v120, 0xb461, v100
	v_fma_f16 v152, v52, s17, -v151
	v_fma_f16 v121, v48, s21, v120
	v_add_f16_e32 v79, v152, v79
	v_mul_f16_e32 v152, 0xbbf7, v107
	v_add_f16_e32 v91, v121, v91
	v_mul_f16_e32 v121, 0x3722, v102
	v_fma_f16 v153, v54, s6, -v152
	;; [unrolled: 6-line block ×7, first 2 shown]
	v_fma_f16 v127, v56, s1, v126
	v_add_f16_e32 v79, v158, v79
	v_mul_f16_e32 v158, 0x35c8, v43
	v_add_f16_e32 v74, v127, v74
	v_mul_f16_e32 v127, 0x3bb2, v113
	v_fma_f16 v159, v72, s19, v158
	v_fma_f16 v128, v57, s7, v127
	v_add_f16_e32 v80, v159, v80
	v_mul_f16_e32 v159, 0xb836, v44
	v_add_f16_e32 v74, v128, v74
	v_mul_f16_e32 v128, 0x3b29, v115
	v_fma_f16 v160, v94, s1, v159
	;; [unrolled: 6-line block ×3, first 2 shown]
	v_fma_f16 v158, v72, s19, -v158
	v_fma_f16 v144, v72, s17, -v144
	v_fma_f16 v130, v60, s19, v129
	v_mul_f16_e32 v72, 0x39e9, v72
	v_add_f16_e32 v80, v161, v80
	v_mul_f16_e32 v161, 0xba62, v46
	v_add_f16_e32 v82, v158, v82
	v_fma_f16 v158, v94, s1, -v159
	v_add_f16_e32 v84, v144, v84
	v_fma_f16 v144, v94, s6, -v145
	v_add_f16_e32 v74, v130, v74
	v_fma_f16 v130, v43, s13, v72
	v_mul_f16_e32 v94, 0x3722, v94
	v_fma_f16 v162, v98, s10, v161
	v_add_f16_e32 v82, v158, v82
	v_fma_f16 v158, v96, s18, -v160
	v_add_f16_e32 v84, v144, v84
	v_fma_f16 v144, v96, s10, -v146
	v_add_f16_e32 v92, v130, v92
	v_fma_f16 v130, v44, s16, v94
	v_mul_f16_e32 v96, 0x2de8, v96
	v_add_f16_e32 v80, v162, v80
	v_mul_f16_e32 v162, 0x3b29, v48
	v_add_f16_e32 v82, v158, v82
	v_fma_f16 v158, v98, s10, -v161
	v_add_f16_e32 v84, v144, v84
	v_fma_f16 v144, v98, s19, -v147
	v_add_f16_e32 v92, v130, v92
	v_fma_f16 v130, v45, s23, v96
	s_movk_i32 s23, 0x3bb2
	v_mul_f16_e32 v98, 0xb461, v98
	v_fma_f16 v163, v100, s17, v162
	v_add_f16_e32 v82, v158, v82
	v_fma_f16 v158, v100, s17, -v162
	v_add_f16_e32 v84, v144, v84
	v_fma_f16 v144, v100, s0, -v148
	v_add_f16_e32 v92, v130, v92
	v_fma_f16 v130, v46, s23, v98
	v_mul_f16_e32 v100, 0xb8d2, v100
	v_add_f16_e32 v92, v130, v92
	v_fma_f16 v130, v48, s22, v100
	v_add_f16_e32 v10, v64, v10
	s_mov_b32 s22, 0xba62
	v_add_f16_e32 v10, v10, v11
	v_fma_f16 v11, v43, s22, v71
	v_add_f16_e32 v10, v10, v12
	v_add_f16_e32 v11, v11, v62
	v_fma_f16 v12, v44, s25, v88
	v_add_f16_e32 v11, v12, v11
	v_fma_f16 v12, v45, s23, v89
	;; [unrolled: 2-line block ×4, first 2 shown]
	s_mov_b32 s13, 0xbbf7
	v_add_f16_e32 v11, v12, v11
	v_fma_f16 v12, v49, s13, v95
	v_add_f16_e32 v11, v12, v11
	v_fma_f16 v12, v51, s26, v97
	v_add_f16_e32 v10, v10, v17
	v_add_f16_e32 v11, v12, v11
	v_fma_f16 v12, v52, s10, -v99
	v_add_f16_e32 v10, v10, v14
	v_add_f16_e32 v12, v12, v59
	v_fma_f16 v14, v54, s0, -v101
	v_add_f16_e32 v12, v14, v12
	v_fma_f16 v14, v55, s7, -v103
	;; [unrolled: 2-line block ×6, first 2 shown]
	v_add_f16_e32 v12, v14, v12
	v_fma_f16 v14, v43, s13, v114
	v_add_f16_e32 v10, v10, v15
	v_add_f16_e32 v14, v14, v53
	v_fma_f16 v15, v44, s22, v116
	v_add_f16_e32 v14, v15, v14
	v_fma_f16 v15, v45, s20, v118
	;; [unrolled: 2-line block ×6, first 2 shown]
	v_add_f16_e32 v14, v15, v14
	v_fma_f16 v15, v52, s6, -v123
	v_add_f16_e32 v10, v10, v16
	v_add_f16_e32 v15, v15, v47
	v_fma_f16 v16, v54, s10, -v124
	v_add_f16_e32 v15, v16, v15
	v_fma_f16 v16, v55, s0, -v125
	v_add_f16_e32 v80, v163, v80
	v_mul_f16_e32 v163, 0xbbb2, v49
	v_add_f16_e32 v15, v16, v15
	v_fma_f16 v16, v56, s1, -v126
	v_fma_f16 v164, v102, s7, v163
	v_add_f16_e32 v15, v16, v15
	v_fma_f16 v16, v57, s7, -v127
	v_add_f16_e32 v80, v164, v80
	v_mul_f16_e32 v164, 0x3bf7, v51
	v_add_f16_e32 v15, v16, v15
	v_fma_f16 v16, v58, s17, -v128
	v_fma_f16 v165, v104, s6, v164
	v_add_f16_e32 v15, v16, v15
	v_fma_f16 v16, v60, s19, -v129
	v_add_f16_e32 v80, v165, v80
	v_mul_f16_e32 v165, 0x35c8, v105
	v_add_f16_e32 v15, v16, v15
	v_fma_f16 v16, v43, s15, v72
	v_fma_f16 v166, v52, s19, -v165
	v_add_f16_e32 v39, v65, v39
	v_add_f16_e32 v16, v16, v42
	v_fma_f16 v17, v44, s11, v94
	v_add_f16_e32 v81, v166, v81
	v_mul_f16_e32 v166, 0xb836, v107
	v_add_f16_e32 v39, v39, v40
	v_add_f16_e32 v16, v17, v16
	v_fma_f16 v17, v45, s13, v96
	v_fma_f16 v167, v54, s1, -v166
	v_add_f16_e32 v39, v39, v41
	v_add_f16_e32 v16, v17, v16
	v_fma_f16 v17, v46, s21, v98
	v_add_f16_e32 v81, v167, v81
	v_mul_f16_e32 v167, 0x3964, v109
	v_add_f16_e32 v82, v158, v82
	v_fma_f16 v158, v102, s7, -v163
	v_add_f16_e32 v84, v144, v84
	v_fma_f16 v144, v102, s18, -v149
	v_mul_f16_e32 v102, 0xbacd, v102
	v_add_f16_e32 v13, v39, v13
	v_add_f16_e32 v16, v17, v16
	v_fma_f16 v17, v48, s22, v100
	v_fma_f16 v168, v55, s18, -v167
	v_add_f16_e32 v82, v158, v82
	v_fma_f16 v158, v104, s6, -v164
	v_add_f16_e32 v84, v144, v84
	v_fma_f16 v144, v104, s7, -v150
	v_mul_f16_e32 v104, 0xbbdd, v104
	v_add_f16_e32 v13, v13, v36
	v_add_f16_e32 v16, v17, v16
	v_fma_f16 v17, v49, s26, v102
	v_add_f16_e32 v81, v168, v81
	v_mul_f16_e32 v168, 0xba62, v111
	v_add_f16_e32 v92, v130, v92
	v_fma_f16 v130, v49, s24, v102
	v_mul_f16_e32 v105, 0xb964, v105
	v_add_f16_e32 v13, v13, v37
	v_add_f16_e32 v16, v17, v16
	v_fma_f16 v17, v51, s20, v104
	v_fma_f16 v169, v56, s10, -v168
	v_add_f16_e32 v92, v130, v92
	v_fma_f16 v130, v51, s25, v104
	v_mul_f16_e32 v107, 0xbb29, v107
	v_add_f16_e32 v13, v13, v38
	v_add_f16_e32 v16, v17, v16
	v_fma_f16 v17, v52, s18, -v105
	v_add_f16_e32 v81, v169, v81
	v_mul_f16_e32 v169, 0x3b29, v113
	v_add_f16_e32 v92, v130, v92
	v_fma_f16 v130, v52, s18, v105
	v_mul_f16_e32 v109, 0xbbf7, v109
	v_add_f16_e32 v13, v13, v35
	v_add_f16_e32 v10, v10, v30
	v_add_f16_e32 v9, v17, v9
	v_fma_f16 v17, v54, s17, -v107
	v_fma_f16 v170, v57, s17, -v169
	v_add_f16_e32 v75, v130, v75
	v_fma_f16 v130, v54, s17, v107
	v_mul_f16_e32 v111, 0xbbb2, v111
	v_add_f16_e32 v13, v13, v33
	v_add_f16_e32 v10, v10, v21
	;; [unrolled: 1-line block ×3, first 2 shown]
	v_fma_f16 v17, v55, s6, -v109
	v_add_f16_e32 v81, v170, v81
	v_mul_f16_e32 v170, 0xbbb2, v115
	v_add_f16_e32 v75, v130, v75
	v_fma_f16 v130, v55, s6, v109
	v_mul_f16_e32 v113, 0xba62, v113
	v_add_f16_e32 v13, v13, v34
	v_add_f16_e32 v10, v10, v20
	;; [unrolled: 1-line block ×3, first 2 shown]
	v_fma_f16 v17, v56, s7, -v111
	v_fma_f16 v171, v58, s7, -v170
	v_add_f16_e32 v84, v144, v84
	v_fma_f16 v144, v52, s17, v151
	v_add_f16_e32 v75, v130, v75
	v_fma_f16 v130, v56, s7, v111
	v_mul_f16_e32 v115, 0xb836, v115
	v_add_f16_e32 v13, v13, v32
	v_add_f16_e32 v10, v10, v18
	;; [unrolled: 1-line block ×3, first 2 shown]
	v_fma_f16 v17, v57, s10, -v113
	v_add_f16_e32 v81, v171, v81
	v_mul_f16_e32 v171, 0x3bf7, v117
	v_add_f16_e32 v82, v158, v82
	v_fma_f16 v158, v52, s19, v165
	v_add_f16_e32 v85, v144, v85
	v_fma_f16 v144, v54, s6, v152
	;; [unrolled: 2-line block ×3, first 2 shown]
	v_mul_f16_e32 v117, 0xb1e1, v117
	v_add_f16_e32 v13, v13, v31
	v_add_f16_e32 v10, v10, v26
	;; [unrolled: 1-line block ×3, first 2 shown]
	v_fma_f16 v17, v58, s1, -v115
	v_add_f16_e32 v83, v158, v83
	v_fma_f16 v158, v54, s1, v166
	v_add_f16_e32 v85, v144, v85
	v_fma_f16 v144, v55, s10, v153
	;; [unrolled: 2-line block ×3, first 2 shown]
	v_add_f16_e32 v13, v13, v29
	v_add_f16_e32 v10, v10, v25
	;; [unrolled: 1-line block ×3, first 2 shown]
	v_fma_f16 v17, v60, s0, -v117
	v_add_f16_e32 v83, v158, v83
	v_fma_f16 v158, v55, s18, v167
	v_add_f16_e32 v85, v144, v85
	v_fma_f16 v144, v56, s19, v154
	;; [unrolled: 2-line block ×3, first 2 shown]
	v_add_f16_e32 v13, v13, v28
	v_add_f16_e32 v10, v10, v23
	v_add_f16_e32 v9, v17, v9
	v_mov_b32_e32 v17, 2
	v_add_f16_e32 v83, v158, v83
	v_fma_f16 v158, v56, s10, v168
	v_add_f16_e32 v85, v144, v85
	v_fma_f16 v144, v57, s0, v155
	v_add_f16_e32 v75, v130, v75
	v_add_f16_e32 v13, v13, v27
	v_add_f16_e32 v10, v10, v22
	v_lshlrev_b32_sdwa v17, v17, v19 dst_sel:DWORD dst_unused:UNUSED_PAD src0_sel:DWORD src1_sel:BYTE_0
	v_add_f16_e32 v83, v158, v83
	v_fma_f16 v158, v57, s17, v169
	v_add_f16_e32 v85, v144, v85
	v_fma_f16 v144, v58, s18, v156
	v_add3_u32 v1, 0, v1, v17
	v_pack_b32_f16 v10, v13, v10
	v_pack_b32_f16 v13, v75, v92
	v_add_f16_e32 v83, v158, v83
	v_fma_f16 v158, v58, s7, v170
	v_add_f16_e32 v85, v144, v85
	v_fma_f16 v144, v60, s7, v157
	ds_write2_b32 v1, v10, v13 offset1:3
	v_pack_b32_f16 v10, v74, v91
	v_pack_b32_f16 v13, v73, v87
	v_fma_f16 v172, v60, s6, -v171
	v_add_f16_e32 v83, v158, v83
	v_fma_f16 v158, v60, s6, v171
	v_add_f16_e32 v85, v144, v85
	ds_write2_b32 v1, v10, v13 offset0:6 offset1:9
	v_pack_b32_f16 v10, v69, v68
	v_pack_b32_f16 v13, v67, v70
	v_add_f16_e32 v81, v172, v81
	v_add_f16_e32 v83, v158, v83
	ds_write2_b32 v1, v10, v13 offset0:12 offset1:15
	v_pack_b32_f16 v10, v86, v76
	v_pack_b32_f16 v13, v85, v84
	ds_write2_b32 v1, v10, v13 offset0:18 offset1:21
	v_pack_b32_f16 v10, v83, v82
	v_pack_b32_f16 v13, v81, v80
	;; [unrolled: 3-line block ×5, first 2 shown]
	ds_write2_b32 v1, v8, v10 offset0:42 offset1:45
	v_pack_b32_f16 v8, v9, v16
	ds_write_b32 v1, v8 offset:192
.LBB0_23:
	s_or_b64 exec, exec, s[4:5]
	v_mul_u32_u24_e32 v1, 6, v0
	v_lshlrev_b32_e32 v1, 2, v1
	s_waitcnt lgkmcnt(0)
	; wave barrier
	s_waitcnt lgkmcnt(0)
	global_load_dwordx4 v[8:11], v1, s[8:9] offset:192
	global_load_dwordx2 v[12:13], v1, s[8:9] offset:208
	v_add_u32_e32 v1, 0x400, v24
	ds_read2_b32 v[14:15], v24 offset1:51
	ds_read2_b32 v[16:17], v24 offset0:102 offset1:153
	ds_read2_b32 v[18:19], v24 offset0:204 offset1:255
	v_add_u32_e32 v29, 0x600, v24
	v_add_u32_e32 v30, 0x800, v24
	ds_read2_b32 v[20:21], v1 offset0:50 offset1:101
	ds_read2_b32 v[22:23], v1 offset0:152 offset1:203
	;; [unrolled: 1-line block ×4, first 2 shown]
	s_waitcnt lgkmcnt(5)
	v_lshrrev_b32_e32 v33, 16, v16
	s_waitcnt lgkmcnt(4)
	v_lshrrev_b32_e32 v34, 16, v18
	v_lshrrev_b32_e32 v31, 16, v17
	s_waitcnt lgkmcnt(1)
	v_lshrrev_b32_e32 v35, 16, v25
	s_waitcnt lgkmcnt(0)
	v_lshrrev_b32_e32 v36, 16, v27
	v_lshrrev_b32_e32 v32, 16, v19
	;; [unrolled: 1-line block ×8, first 2 shown]
	s_movk_i32 s0, 0x2b26
	s_mov_b32 s1, 0xbb00
	s_mov_b32 s4, 0xbcab
	s_movk_i32 s5, 0x39e0
	s_mov_b32 s6, 0xb9e0
	s_mov_b32 s7, 0xb574
	s_movk_i32 s10, 0x3574
	s_mov_b32 s11, 0xb70e
	s_waitcnt lgkmcnt(0)
	; wave barrier
	s_waitcnt vmcnt(1)
	v_mul_f16_sdwa v43, v8, v33 dst_sel:DWORD dst_unused:UNUSED_PAD src0_sel:WORD_1 src1_sel:DWORD
	v_mul_f16_sdwa v44, v8, v16 dst_sel:DWORD dst_unused:UNUSED_PAD src0_sel:WORD_1 src1_sel:DWORD
	;; [unrolled: 1-line block ×4, first 2 shown]
	s_waitcnt vmcnt(0)
	v_mul_f16_sdwa v51, v35, v12 dst_sel:DWORD dst_unused:UNUSED_PAD src0_sel:DWORD src1_sel:WORD_1
	v_mul_f16_sdwa v52, v25, v12 dst_sel:DWORD dst_unused:UNUSED_PAD src0_sel:DWORD src1_sel:WORD_1
	;; [unrolled: 1-line block ×4, first 2 shown]
	v_mul_f16_sdwa v47, v10, v41 dst_sel:DWORD dst_unused:UNUSED_PAD src0_sel:WORD_1 src1_sel:DWORD
	v_mul_f16_sdwa v48, v10, v20 dst_sel:DWORD dst_unused:UNUSED_PAD src0_sel:WORD_1 src1_sel:DWORD
	;; [unrolled: 1-line block ×4, first 2 shown]
	v_mul_f16_sdwa v55, v31, v8 dst_sel:DWORD dst_unused:UNUSED_PAD src0_sel:DWORD src1_sel:WORD_1
	v_mul_f16_sdwa v56, v17, v8 dst_sel:DWORD dst_unused:UNUSED_PAD src0_sel:DWORD src1_sel:WORD_1
	;; [unrolled: 1-line block ×4, first 2 shown]
	v_fma_f16 v16, v8, v16, v43
	v_fma_f16 v33, v8, v33, -v44
	v_fma_f16 v18, v9, v18, v45
	v_fma_f16 v34, v9, v34, -v46
	;; [unrolled: 2-line block ×4, first 2 shown]
	v_mul_f16_sdwa v59, v37, v10 dst_sel:DWORD dst_unused:UNUSED_PAD src0_sel:DWORD src1_sel:WORD_1
	v_mul_f16_sdwa v60, v21, v10 dst_sel:DWORD dst_unused:UNUSED_PAD src0_sel:DWORD src1_sel:WORD_1
	;; [unrolled: 1-line block ×4, first 2 shown]
	v_fma_f16 v20, v10, v20, v47
	v_fma_f16 v41, v10, v41, -v48
	v_fma_f16 v22, v11, v22, v49
	v_fma_f16 v42, v11, v42, -v50
	;; [unrolled: 2-line block ×4, first 2 shown]
	v_add_f16_e32 v31, v16, v27
	v_add_f16_e32 v32, v33, v36
	v_sub_f16_e32 v16, v16, v27
	v_sub_f16_e32 v27, v33, v36
	v_add_f16_e32 v33, v18, v25
	v_add_f16_e32 v36, v34, v35
	v_mul_f16_sdwa v63, v39, v12 dst_sel:DWORD dst_unused:UNUSED_PAD src0_sel:DWORD src1_sel:WORD_1
	v_mul_f16_sdwa v64, v26, v12 dst_sel:DWORD dst_unused:UNUSED_PAD src0_sel:DWORD src1_sel:WORD_1
	;; [unrolled: 1-line block ×4, first 2 shown]
	v_fma_f16 v21, v21, v10, v59
	v_fma_f16 v10, v37, v10, -v60
	v_fma_f16 v23, v23, v11, v61
	v_fma_f16 v11, v38, v11, -v62
	v_sub_f16_e32 v18, v18, v25
	v_sub_f16_e32 v25, v34, v35
	v_add_f16_e32 v34, v20, v22
	v_add_f16_e32 v35, v41, v42
	v_sub_f16_e32 v20, v22, v20
	v_sub_f16_e32 v22, v42, v41
	v_add_f16_e32 v37, v33, v31
	v_add_f16_e32 v38, v36, v32
	v_fma_f16 v26, v26, v12, v63
	v_fma_f16 v12, v39, v12, -v64
	v_fma_f16 v28, v28, v13, v65
	v_fma_f16 v13, v40, v13, -v66
	v_sub_f16_e32 v39, v33, v31
	v_sub_f16_e32 v40, v36, v32
	;; [unrolled: 1-line block ×6, first 2 shown]
	v_add_f16_e32 v41, v20, v18
	v_add_f16_e32 v42, v22, v25
	v_sub_f16_e32 v43, v20, v18
	v_sub_f16_e32 v44, v22, v25
	;; [unrolled: 1-line block ×4, first 2 shown]
	v_add_f16_e32 v34, v34, v37
	v_add_f16_e32 v35, v35, v38
	v_sub_f16_e32 v20, v16, v20
	v_sub_f16_e32 v22, v27, v22
	v_add_f16_e32 v16, v41, v16
	v_add_f16_e32 v27, v42, v27
	v_add_f16_e32 v37, v34, v14
	v_add_f16_sdwa v14, v35, v14 dst_sel:DWORD dst_unused:UNUSED_PAD src0_sel:DWORD src1_sel:WORD_1
	v_mul_f16_e32 v31, 0x3a52, v31
	v_mul_f16_e32 v32, 0x3a52, v32
	;; [unrolled: 1-line block ×8, first 2 shown]
	v_fma_f16 v34, v34, s4, v37
	v_fma_f16 v35, v35, s4, v14
	;; [unrolled: 1-line block ×4, first 2 shown]
	v_fma_f16 v38, v39, s5, -v38
	v_fma_f16 v41, v40, s5, -v41
	;; [unrolled: 1-line block ×4, first 2 shown]
	v_fma_f16 v39, v20, s7, v42
	v_fma_f16 v40, v22, s7, v43
	v_fma_f16 v18, v18, s1, -v42
	v_fma_f16 v20, v20, s10, -v44
	;; [unrolled: 1-line block ×4, first 2 shown]
	v_add_f16_e32 v33, v33, v34
	v_add_f16_e32 v36, v36, v35
	;; [unrolled: 1-line block ×6, first 2 shown]
	v_fma_f16 v34, v16, s11, v39
	v_fma_f16 v35, v27, s11, v40
	;; [unrolled: 1-line block ×6, first 2 shown]
	v_add_f16_e32 v22, v35, v33
	v_sub_f16_e32 v27, v36, v34
	v_add_f16_e32 v39, v20, v31
	v_sub_f16_e32 v40, v32, v16
	v_sub_f16_e32 v20, v31, v20
	v_add_f16_e32 v16, v16, v32
	v_sub_f16_e32 v31, v33, v35
	v_add_f16_e32 v32, v34, v36
	v_add_f16_e32 v33, v17, v28
	;; [unrolled: 1-line block ×3, first 2 shown]
	v_sub_f16_e32 v17, v17, v28
	v_sub_f16_e32 v8, v8, v13
	v_add_f16_e32 v13, v19, v26
	v_add_f16_e32 v28, v9, v12
	v_sub_f16_e32 v19, v19, v26
	v_sub_f16_e32 v9, v9, v12
	v_add_f16_e32 v12, v21, v23
	v_add_f16_e32 v26, v10, v11
	;; [unrolled: 4-line block ×3, first 2 shown]
	v_sub_f16_e32 v42, v38, v25
	v_add_f16_e32 v43, v18, v41
	v_add_f16_e32 v25, v25, v38
	v_sub_f16_e32 v18, v41, v18
	v_sub_f16_e32 v35, v13, v33
	;; [unrolled: 1-line block ×7, first 2 shown]
	v_add_f16_e32 v38, v21, v19
	v_add_f16_e32 v41, v10, v9
	v_sub_f16_e32 v44, v21, v19
	v_sub_f16_e32 v45, v10, v9
	;; [unrolled: 1-line block ×4, first 2 shown]
	v_add_f16_e32 v11, v12, v11
	v_add_f16_e32 v12, v26, v23
	v_sub_f16_e32 v21, v17, v21
	v_sub_f16_e32 v10, v8, v10
	v_add_f16_e32 v17, v38, v17
	v_add_f16_e32 v8, v41, v8
	;; [unrolled: 1-line block ×3, first 2 shown]
	v_add_f16_sdwa v15, v12, v15 dst_sel:DWORD dst_unused:UNUSED_PAD src0_sel:DWORD src1_sel:WORD_1
	v_mul_f16_e32 v26, 0x3a52, v33
	v_mul_f16_e32 v33, 0x3a52, v34
	;; [unrolled: 1-line block ×8, first 2 shown]
	v_fma_f16 v11, v11, s4, v23
	v_fma_f16 v12, v12, s4, v15
	;; [unrolled: 1-line block ×4, first 2 shown]
	v_fma_f16 v34, v35, s5, -v34
	v_fma_f16 v38, v36, s5, -v38
	;; [unrolled: 1-line block ×4, first 2 shown]
	v_fma_f16 v35, v21, s7, v41
	v_fma_f16 v36, v10, s7, v44
	v_fma_f16 v19, v19, s1, -v41
	v_fma_f16 v9, v9, s1, -v44
	;; [unrolled: 1-line block ×4, first 2 shown]
	v_add_f16_e32 v13, v13, v11
	v_add_f16_e32 v28, v28, v12
	;; [unrolled: 1-line block ×6, first 2 shown]
	v_fma_f16 v26, v17, s11, v35
	v_fma_f16 v33, v8, s11, v36
	;; [unrolled: 1-line block ×6, first 2 shown]
	v_add_f16_e32 v35, v8, v11
	v_sub_f16_e32 v36, v12, v17
	v_sub_f16_e32 v8, v11, v8
	v_add_f16_e32 v11, v17, v12
	v_pack_b32_f16 v14, v37, v14
	v_pack_b32_f16 v17, v22, v27
	ds_write2_b32 v24, v14, v17 offset1:51
	v_pack_b32_f16 v14, v39, v40
	v_pack_b32_f16 v17, v42, v43
	ds_write2_b32 v24, v14, v17 offset0:102 offset1:153
	v_pack_b32_f16 v14, v25, v18
	v_pack_b32_f16 v16, v20, v16
	v_add_f16_e32 v10, v33, v13
	v_sub_f16_e32 v21, v28, v26
	ds_write2_b32 v24, v14, v16 offset0:204 offset1:255
	v_pack_b32_f16 v14, v31, v32
	v_pack_b32_f16 v15, v23, v15
	v_sub_f16_e32 v41, v34, v9
	v_add_f16_e32 v44, v19, v38
	v_add_f16_e32 v9, v9, v34
	v_sub_f16_e32 v19, v38, v19
	ds_write2_b32 v1, v14, v15 offset0:50 offset1:101
	v_pack_b32_f16 v10, v10, v21
	v_pack_b32_f16 v14, v35, v36
	v_sub_f16_e32 v12, v13, v33
	v_add_f16_e32 v13, v26, v28
	ds_write2_b32 v1, v10, v14 offset0:152 offset1:203
	v_pack_b32_f16 v10, v41, v44
	v_pack_b32_f16 v9, v9, v19
	ds_write2_b32 v29, v10, v9 offset0:126 offset1:177
	v_pack_b32_f16 v8, v8, v11
	v_pack_b32_f16 v9, v12, v13
	ds_write2_b32 v30, v8, v9 offset0:100 offset1:151
	v_mov_b32_e32 v8, s9
	v_add_co_u32_e64 v4, s[0:1], s8, v4
	v_addc_co_u32_e64 v5, s[0:1], v8, v5, s[0:1]
	s_waitcnt lgkmcnt(0)
	; wave barrier
	s_waitcnt lgkmcnt(0)
	global_load_dword v16, v[4:5], off offset:1416
	v_add_co_u32_e64 v4, s[0:1], s8, v6
	v_addc_co_u32_e64 v5, s[0:1], v8, v7, s[0:1]
	global_load_dword v17, v[4:5], off offset:1620
	global_load_dword v18, v[4:5], off offset:1824
	global_load_dword v19, v[4:5], off offset:2028
	global_load_dword v20, v[4:5], off offset:2640
	global_load_dword v21, v[4:5], off offset:2232
	global_load_dword v22, v[4:5], off offset:2436
	ds_read2_b32 v[4:5], v24 offset1:51
	ds_read2_b32 v[6:7], v1 offset0:50 offset1:101
	ds_read2_b32 v[8:9], v1 offset0:152 offset1:203
	;; [unrolled: 1-line block ×5, first 2 shown]
	ds_read_u16 v23, v24 offset:2246
	s_mov_b32 s0, 0xffff
	s_waitcnt vmcnt(6) lgkmcnt(5)
	v_pk_mul_f16 v25, v16, v7 op_sel:[0,1]
	v_pk_fma_f16 v26, v16, v7, v25 op_sel:[0,0,1] op_sel_hi:[1,1,0]
	v_pk_fma_f16 v7, v16, v7, v25 op_sel:[0,0,1] op_sel_hi:[1,0,0] neg_lo:[1,0,0] neg_hi:[1,0,0]
	v_bfi_b32 v7, s0, v26, v7
	v_pk_add_f16 v7, v4, v7 neg_lo:[0,1] neg_hi:[0,1]
	v_pk_fma_f16 v16, v4, 2.0, v7 op_sel_hi:[1,0,1] neg_lo:[0,0,1] neg_hi:[0,0,1]
	s_waitcnt vmcnt(5) lgkmcnt(4)
	v_pk_mul_f16 v4, v17, v8 op_sel:[0,1]
	v_pk_fma_f16 v25, v17, v8, v4 op_sel:[0,0,1] op_sel_hi:[1,1,0]
	v_pk_fma_f16 v4, v17, v8, v4 op_sel:[0,0,1] op_sel_hi:[1,0,0] neg_lo:[1,0,0] neg_hi:[1,0,0]
	v_bfi_b32 v4, s0, v25, v4
	v_pk_add_f16 v8, v5, v4 neg_lo:[0,1] neg_hi:[0,1]
	s_waitcnt vmcnt(4)
	v_pk_mul_f16 v4, v18, v9 op_sel:[0,1]
	v_pk_fma_f16 v17, v5, 2.0, v8 op_sel_hi:[1,0,1] neg_lo:[0,0,1] neg_hi:[0,0,1]
	v_pk_fma_f16 v5, v18, v9, v4 op_sel:[0,0,1] op_sel_hi:[1,1,0]
	v_pk_fma_f16 v4, v18, v9, v4 op_sel:[0,0,1] op_sel_hi:[1,0,0] neg_lo:[1,0,0] neg_hi:[1,0,0]
	v_bfi_b32 v4, s0, v5, v4
	s_waitcnt lgkmcnt(3)
	v_pk_add_f16 v9, v10, v4 neg_lo:[0,1] neg_hi:[0,1]
	s_waitcnt vmcnt(3) lgkmcnt(2)
	v_pk_mul_f16 v4, v19, v12 op_sel:[0,1]
	v_pk_fma_f16 v5, v19, v12, v4 op_sel:[0,0,1] op_sel_hi:[1,1,0]
	v_pk_fma_f16 v4, v19, v12, v4 op_sel:[0,0,1] op_sel_hi:[1,0,0] neg_lo:[1,0,0] neg_hi:[1,0,0]
	v_bfi_b32 v4, s0, v5, v4
	v_pk_add_f16 v12, v11, v4 neg_lo:[0,1] neg_hi:[0,1]
	ds_read2_b32 v[4:5], v30 offset0:100 offset1:151
	s_waitcnt vmcnt(1) lgkmcnt(1)
	v_pk_mul_f16 v18, v23, v21 op_sel_hi:[0,1]
	v_pk_fma_f16 v19, v21, v13, v18 op_sel:[0,0,1] op_sel_hi:[1,1,0]
	v_pk_fma_f16 v13, v21, v13, v18 op_sel:[0,0,1] op_sel_hi:[1,0,0] neg_lo:[1,0,0] neg_hi:[1,0,0]
	v_bfi_b32 v13, s0, v19, v13
	s_waitcnt vmcnt(0) lgkmcnt(0)
	v_pk_mul_f16 v18, v4, v22 op_sel:[0,1]
	v_pk_fma_f16 v19, v4, v22, v18 op_sel:[0,0,1] op_sel_hi:[1,1,0]
	v_pk_fma_f16 v4, v4, v22, v18 op_sel:[0,0,1] op_sel_hi:[1,0,0] neg_lo:[0,0,1] neg_hi:[0,0,1]
	v_pk_mul_f16 v18, v5, v20 op_sel:[0,1]
	v_bfi_b32 v4, s0, v19, v4
	v_pk_fma_f16 v19, v5, v20, v18 op_sel:[0,0,1] op_sel_hi:[1,1,0]
	v_pk_fma_f16 v5, v5, v20, v18 op_sel:[0,0,1] op_sel_hi:[1,0,0] neg_lo:[0,0,1] neg_hi:[0,0,1]
	v_bfi_b32 v5, s0, v19, v5
	v_pk_add_f16 v13, v14, v13 neg_lo:[0,1] neg_hi:[0,1]
	v_pk_add_f16 v4, v15, v4 neg_lo:[0,1] neg_hi:[0,1]
	;; [unrolled: 1-line block ×3, first 2 shown]
	v_pk_fma_f16 v10, v10, 2.0, v9 op_sel_hi:[1,0,1] neg_lo:[0,0,1] neg_hi:[0,0,1]
	v_pk_fma_f16 v11, v11, 2.0, v12 op_sel_hi:[1,0,1] neg_lo:[0,0,1] neg_hi:[0,0,1]
	;; [unrolled: 1-line block ×5, first 2 shown]
	s_waitcnt lgkmcnt(0)
	; wave barrier
	ds_write2_b32 v24, v16, v17 offset1:51
	ds_write2_b32 v1, v8, v9 offset0:152 offset1:203
	ds_write2_b32 v24, v10, v11 offset0:102 offset1:153
	;; [unrolled: 1-line block ×6, first 2 shown]
	s_waitcnt lgkmcnt(0)
	; wave barrier
	s_waitcnt lgkmcnt(0)
	s_and_saveexec_b64 s[0:1], vcc
	s_cbranch_execz .LBB0_25
; %bb.24:
	v_lshl_add_u32 v6, v0, 2, 0
	v_mov_b32_e32 v1, 0
	ds_read2_b32 v[4:5], v6 offset1:51
	v_mov_b32_e32 v7, s3
	v_add_co_u32_e32 v8, vcc, s2, v2
	v_addc_co_u32_e32 v7, vcc, v7, v3, vcc
	v_lshlrev_b64 v[2:3], 2, v[0:1]
	v_add_u32_e32 v9, 0x400, v6
	v_add_co_u32_e32 v2, vcc, v8, v2
	v_addc_co_u32_e32 v3, vcc, v7, v3, vcc
	s_waitcnt lgkmcnt(0)
	global_store_dword v[2:3], v4, off
	v_add_u32_e32 v2, 51, v0
	v_mov_b32_e32 v3, v1
	v_lshlrev_b64 v[2:3], 2, v[2:3]
	v_add_co_u32_e32 v2, vcc, v8, v2
	v_addc_co_u32_e32 v3, vcc, v7, v3, vcc
	global_store_dword v[2:3], v5, off
	v_add_u32_e32 v2, 0x66, v0
	v_mov_b32_e32 v3, v1
	ds_read2_b32 v[4:5], v6 offset0:102 offset1:153
	v_lshlrev_b64 v[2:3], 2, v[2:3]
	v_add_co_u32_e32 v2, vcc, v8, v2
	v_addc_co_u32_e32 v3, vcc, v7, v3, vcc
	s_waitcnt lgkmcnt(0)
	global_store_dword v[2:3], v4, off
	v_add_u32_e32 v2, 0x99, v0
	v_mov_b32_e32 v3, v1
	v_lshlrev_b64 v[2:3], 2, v[2:3]
	v_add_co_u32_e32 v2, vcc, v8, v2
	v_addc_co_u32_e32 v3, vcc, v7, v3, vcc
	global_store_dword v[2:3], v5, off
	v_add_u32_e32 v2, 0xcc, v0
	v_mov_b32_e32 v3, v1
	ds_read2_b32 v[4:5], v6 offset0:204 offset1:255
	v_lshlrev_b64 v[2:3], 2, v[2:3]
	;; [unrolled: 14-line block ×4, first 2 shown]
	v_add_co_u32_e32 v2, vcc, v8, v2
	v_addc_co_u32_e32 v3, vcc, v7, v3, vcc
	s_waitcnt lgkmcnt(0)
	global_store_dword v[2:3], v4, off
	v_add_u32_e32 v2, 0x1cb, v0
	v_mov_b32_e32 v3, v1
	v_lshlrev_b64 v[2:3], 2, v[2:3]
	v_add_u32_e32 v4, 0x600, v6
	v_add_co_u32_e32 v2, vcc, v8, v2
	v_addc_co_u32_e32 v3, vcc, v7, v3, vcc
	global_store_dword v[2:3], v5, off
	v_add_u32_e32 v2, 0x1fe, v0
	v_mov_b32_e32 v3, v1
	ds_read2_b32 v[4:5], v4 offset0:126 offset1:177
	v_lshlrev_b64 v[2:3], 2, v[2:3]
	v_add_co_u32_e32 v2, vcc, v8, v2
	v_addc_co_u32_e32 v3, vcc, v7, v3, vcc
	s_waitcnt lgkmcnt(0)
	global_store_dword v[2:3], v4, off
	v_add_u32_e32 v2, 0x231, v0
	v_mov_b32_e32 v3, v1
	v_lshlrev_b64 v[2:3], 2, v[2:3]
	v_add_u32_e32 v4, 0x800, v6
	v_add_co_u32_e32 v2, vcc, v8, v2
	v_addc_co_u32_e32 v3, vcc, v7, v3, vcc
	global_store_dword v[2:3], v5, off
	v_add_u32_e32 v2, 0x264, v0
	v_mov_b32_e32 v3, v1
	v_lshlrev_b64 v[2:3], 2, v[2:3]
	ds_read2_b32 v[4:5], v4 offset0:100 offset1:151
	v_add_u32_e32 v0, 0x297, v0
	v_add_co_u32_e32 v2, vcc, v8, v2
	v_lshlrev_b64 v[0:1], 2, v[0:1]
	v_addc_co_u32_e32 v3, vcc, v7, v3, vcc
	v_add_co_u32_e32 v0, vcc, v8, v0
	v_addc_co_u32_e32 v1, vcc, v7, v1, vcc
	s_waitcnt lgkmcnt(0)
	global_store_dword v[2:3], v4, off
	global_store_dword v[0:1], v5, off
.LBB0_25:
	s_endpgm
	.section	.rodata,"a",@progbits
	.p2align	6, 0x0
	.amdhsa_kernel fft_rtc_back_len714_factors_3_17_7_2_wgs_51_tpt_51_halfLds_half_ip_CI_unitstride_sbrr_C2R_dirReg
		.amdhsa_group_segment_fixed_size 0
		.amdhsa_private_segment_fixed_size 0
		.amdhsa_kernarg_size 88
		.amdhsa_user_sgpr_count 6
		.amdhsa_user_sgpr_private_segment_buffer 1
		.amdhsa_user_sgpr_dispatch_ptr 0
		.amdhsa_user_sgpr_queue_ptr 0
		.amdhsa_user_sgpr_kernarg_segment_ptr 1
		.amdhsa_user_sgpr_dispatch_id 0
		.amdhsa_user_sgpr_flat_scratch_init 0
		.amdhsa_user_sgpr_private_segment_size 0
		.amdhsa_uses_dynamic_stack 0
		.amdhsa_system_sgpr_private_segment_wavefront_offset 0
		.amdhsa_system_sgpr_workgroup_id_x 1
		.amdhsa_system_sgpr_workgroup_id_y 0
		.amdhsa_system_sgpr_workgroup_id_z 0
		.amdhsa_system_sgpr_workgroup_info 0
		.amdhsa_system_vgpr_workitem_id 0
		.amdhsa_next_free_vgpr 173
		.amdhsa_next_free_sgpr 27
		.amdhsa_reserve_vcc 1
		.amdhsa_reserve_flat_scratch 0
		.amdhsa_float_round_mode_32 0
		.amdhsa_float_round_mode_16_64 0
		.amdhsa_float_denorm_mode_32 3
		.amdhsa_float_denorm_mode_16_64 3
		.amdhsa_dx10_clamp 1
		.amdhsa_ieee_mode 1
		.amdhsa_fp16_overflow 0
		.amdhsa_exception_fp_ieee_invalid_op 0
		.amdhsa_exception_fp_denorm_src 0
		.amdhsa_exception_fp_ieee_div_zero 0
		.amdhsa_exception_fp_ieee_overflow 0
		.amdhsa_exception_fp_ieee_underflow 0
		.amdhsa_exception_fp_ieee_inexact 0
		.amdhsa_exception_int_div_zero 0
	.end_amdhsa_kernel
	.text
.Lfunc_end0:
	.size	fft_rtc_back_len714_factors_3_17_7_2_wgs_51_tpt_51_halfLds_half_ip_CI_unitstride_sbrr_C2R_dirReg, .Lfunc_end0-fft_rtc_back_len714_factors_3_17_7_2_wgs_51_tpt_51_halfLds_half_ip_CI_unitstride_sbrr_C2R_dirReg
                                        ; -- End function
	.section	.AMDGPU.csdata,"",@progbits
; Kernel info:
; codeLenInByte = 11984
; NumSgprs: 31
; NumVgprs: 173
; ScratchSize: 0
; MemoryBound: 0
; FloatMode: 240
; IeeeMode: 1
; LDSByteSize: 0 bytes/workgroup (compile time only)
; SGPRBlocks: 3
; VGPRBlocks: 43
; NumSGPRsForWavesPerEU: 31
; NumVGPRsForWavesPerEU: 173
; Occupancy: 1
; WaveLimiterHint : 1
; COMPUTE_PGM_RSRC2:SCRATCH_EN: 0
; COMPUTE_PGM_RSRC2:USER_SGPR: 6
; COMPUTE_PGM_RSRC2:TRAP_HANDLER: 0
; COMPUTE_PGM_RSRC2:TGID_X_EN: 1
; COMPUTE_PGM_RSRC2:TGID_Y_EN: 0
; COMPUTE_PGM_RSRC2:TGID_Z_EN: 0
; COMPUTE_PGM_RSRC2:TIDIG_COMP_CNT: 0
	.type	__hip_cuid_30b0b0e8f3061975,@object ; @__hip_cuid_30b0b0e8f3061975
	.section	.bss,"aw",@nobits
	.globl	__hip_cuid_30b0b0e8f3061975
__hip_cuid_30b0b0e8f3061975:
	.byte	0                               ; 0x0
	.size	__hip_cuid_30b0b0e8f3061975, 1

	.ident	"AMD clang version 19.0.0git (https://github.com/RadeonOpenCompute/llvm-project roc-6.4.0 25133 c7fe45cf4b819c5991fe208aaa96edf142730f1d)"
	.section	".note.GNU-stack","",@progbits
	.addrsig
	.addrsig_sym __hip_cuid_30b0b0e8f3061975
	.amdgpu_metadata
---
amdhsa.kernels:
  - .args:
      - .actual_access:  read_only
        .address_space:  global
        .offset:         0
        .size:           8
        .value_kind:     global_buffer
      - .offset:         8
        .size:           8
        .value_kind:     by_value
      - .actual_access:  read_only
        .address_space:  global
        .offset:         16
        .size:           8
        .value_kind:     global_buffer
      - .actual_access:  read_only
        .address_space:  global
        .offset:         24
        .size:           8
        .value_kind:     global_buffer
      - .offset:         32
        .size:           8
        .value_kind:     by_value
      - .actual_access:  read_only
        .address_space:  global
        .offset:         40
        .size:           8
        .value_kind:     global_buffer
      - .actual_access:  read_only
        .address_space:  global
        .offset:         48
        .size:           8
        .value_kind:     global_buffer
      - .offset:         56
        .size:           4
        .value_kind:     by_value
      - .actual_access:  read_only
        .address_space:  global
        .offset:         64
        .size:           8
        .value_kind:     global_buffer
      - .actual_access:  read_only
        .address_space:  global
        .offset:         72
        .size:           8
        .value_kind:     global_buffer
      - .address_space:  global
        .offset:         80
        .size:           8
        .value_kind:     global_buffer
    .group_segment_fixed_size: 0
    .kernarg_segment_align: 8
    .kernarg_segment_size: 88
    .language:       OpenCL C
    .language_version:
      - 2
      - 0
    .max_flat_workgroup_size: 51
    .name:           fft_rtc_back_len714_factors_3_17_7_2_wgs_51_tpt_51_halfLds_half_ip_CI_unitstride_sbrr_C2R_dirReg
    .private_segment_fixed_size: 0
    .sgpr_count:     31
    .sgpr_spill_count: 0
    .symbol:         fft_rtc_back_len714_factors_3_17_7_2_wgs_51_tpt_51_halfLds_half_ip_CI_unitstride_sbrr_C2R_dirReg.kd
    .uniform_work_group_size: 1
    .uses_dynamic_stack: false
    .vgpr_count:     173
    .vgpr_spill_count: 0
    .wavefront_size: 64
amdhsa.target:   amdgcn-amd-amdhsa--gfx906
amdhsa.version:
  - 1
  - 2
...

	.end_amdgpu_metadata
